;; amdgpu-corpus repo=ROCm/rocFFT kind=compiled arch=gfx1030 opt=O3
	.text
	.amdgcn_target "amdgcn-amd-amdhsa--gfx1030"
	.amdhsa_code_object_version 6
	.protected	fft_rtc_fwd_len780_factors_2_3_13_5_2_wgs_234_tpt_78_halfLds_dp_op_CI_CI_sbrr_dirReg ; -- Begin function fft_rtc_fwd_len780_factors_2_3_13_5_2_wgs_234_tpt_78_halfLds_dp_op_CI_CI_sbrr_dirReg
	.globl	fft_rtc_fwd_len780_factors_2_3_13_5_2_wgs_234_tpt_78_halfLds_dp_op_CI_CI_sbrr_dirReg
	.p2align	8
	.type	fft_rtc_fwd_len780_factors_2_3_13_5_2_wgs_234_tpt_78_halfLds_dp_op_CI_CI_sbrr_dirReg,@function
fft_rtc_fwd_len780_factors_2_3_13_5_2_wgs_234_tpt_78_halfLds_dp_op_CI_CI_sbrr_dirReg: ; @fft_rtc_fwd_len780_factors_2_3_13_5_2_wgs_234_tpt_78_halfLds_dp_op_CI_CI_sbrr_dirReg
; %bb.0:
	s_clause 0x1
	s_load_dwordx4 s[16:19], s[4:5], 0x18
	s_load_dwordx4 s[12:15], s[4:5], 0x0
	v_mul_u32_u24_e32 v1, 0x349, v0
	v_mov_b32_e32 v4, 0
	v_mov_b32_e32 v5, 0
	s_load_dwordx4 s[8:11], s[4:5], 0x58
	s_waitcnt lgkmcnt(0)
	s_load_dwordx2 s[20:21], s[16:17], 0x0
	s_load_dwordx2 s[2:3], s[18:19], 0x0
	v_lshrrev_b32_e32 v2, 16, v1
	v_mov_b32_e32 v1, 0
	v_cmp_lt_u64_e64 s0, s[14:15], 2
	v_mov_b32_e32 v57, v5
	v_mov_b32_e32 v56, v4
	v_mad_u64_u32 v[16:17], null, s6, 3, v[2:3]
	v_mov_b32_e32 v17, v1
	s_and_b32 vcc_lo, exec_lo, s0
	v_mov_b32_e32 v61, v17
	v_mov_b32_e32 v60, v16
	s_cbranch_vccnz .LBB0_8
; %bb.1:
	s_load_dwordx2 s[0:1], s[4:5], 0x10
	v_mov_b32_e32 v4, 0
	v_mov_b32_e32 v5, 0
	s_add_u32 s6, s18, 8
	v_mov_b32_e32 v6, v16
	s_addc_u32 s7, s19, 0
	v_mov_b32_e32 v7, v17
	v_mov_b32_e32 v57, v5
	s_add_u32 s22, s16, 8
	v_mov_b32_e32 v56, v4
	s_addc_u32 s23, s17, 0
	s_mov_b64 s[26:27], 1
	s_waitcnt lgkmcnt(0)
	s_add_u32 s24, s0, 8
	s_addc_u32 s25, s1, 0
.LBB0_2:                                ; =>This Inner Loop Header: Depth=1
	s_load_dwordx2 s[28:29], s[24:25], 0x0
                                        ; implicit-def: $vgpr60_vgpr61
	s_mov_b32 s0, exec_lo
	s_waitcnt lgkmcnt(0)
	v_or_b32_e32 v2, s29, v7
	v_cmpx_ne_u64_e32 0, v[1:2]
	s_xor_b32 s1, exec_lo, s0
	s_cbranch_execz .LBB0_4
; %bb.3:                                ;   in Loop: Header=BB0_2 Depth=1
	v_cvt_f32_u32_e32 v2, s28
	v_cvt_f32_u32_e32 v3, s29
	s_sub_u32 s0, 0, s28
	s_subb_u32 s30, 0, s29
	v_fmac_f32_e32 v2, 0x4f800000, v3
	v_rcp_f32_e32 v2, v2
	v_mul_f32_e32 v2, 0x5f7ffffc, v2
	v_mul_f32_e32 v3, 0x2f800000, v2
	v_trunc_f32_e32 v3, v3
	v_fmac_f32_e32 v2, 0xcf800000, v3
	v_cvt_u32_f32_e32 v3, v3
	v_cvt_u32_f32_e32 v2, v2
	v_mul_lo_u32 v8, s0, v3
	v_mul_hi_u32 v9, s0, v2
	v_mul_lo_u32 v10, s30, v2
	v_add_nc_u32_e32 v8, v9, v8
	v_mul_lo_u32 v9, s0, v2
	v_add_nc_u32_e32 v8, v8, v10
	v_mul_hi_u32 v10, v2, v9
	v_mul_lo_u32 v11, v2, v8
	v_mul_hi_u32 v12, v2, v8
	v_mul_hi_u32 v13, v3, v9
	v_mul_lo_u32 v9, v3, v9
	v_mul_hi_u32 v14, v3, v8
	v_mul_lo_u32 v8, v3, v8
	v_add_co_u32 v10, vcc_lo, v10, v11
	v_add_co_ci_u32_e32 v11, vcc_lo, 0, v12, vcc_lo
	v_add_co_u32 v9, vcc_lo, v10, v9
	v_add_co_ci_u32_e32 v9, vcc_lo, v11, v13, vcc_lo
	v_add_co_ci_u32_e32 v10, vcc_lo, 0, v14, vcc_lo
	v_add_co_u32 v8, vcc_lo, v9, v8
	v_add_co_ci_u32_e32 v9, vcc_lo, 0, v10, vcc_lo
	v_add_co_u32 v2, vcc_lo, v2, v8
	v_add_co_ci_u32_e32 v3, vcc_lo, v3, v9, vcc_lo
	v_mul_hi_u32 v8, s0, v2
	v_mul_lo_u32 v10, s30, v2
	v_mul_lo_u32 v9, s0, v3
	v_add_nc_u32_e32 v8, v8, v9
	v_mul_lo_u32 v9, s0, v2
	v_add_nc_u32_e32 v8, v8, v10
	v_mul_hi_u32 v10, v2, v9
	v_mul_lo_u32 v11, v2, v8
	v_mul_hi_u32 v12, v2, v8
	v_mul_hi_u32 v13, v3, v9
	v_mul_lo_u32 v9, v3, v9
	v_mul_hi_u32 v14, v3, v8
	v_mul_lo_u32 v8, v3, v8
	v_add_co_u32 v10, vcc_lo, v10, v11
	v_add_co_ci_u32_e32 v11, vcc_lo, 0, v12, vcc_lo
	v_add_co_u32 v9, vcc_lo, v10, v9
	v_add_co_ci_u32_e32 v9, vcc_lo, v11, v13, vcc_lo
	v_add_co_ci_u32_e32 v10, vcc_lo, 0, v14, vcc_lo
	v_add_co_u32 v8, vcc_lo, v9, v8
	v_add_co_ci_u32_e32 v9, vcc_lo, 0, v10, vcc_lo
	v_add_co_u32 v8, vcc_lo, v2, v8
	v_add_co_ci_u32_e32 v10, vcc_lo, v3, v9, vcc_lo
	v_mul_hi_u32 v12, v6, v8
	v_mad_u64_u32 v[8:9], null, v7, v8, 0
	v_mad_u64_u32 v[2:3], null, v6, v10, 0
	v_mad_u64_u32 v[10:11], null, v7, v10, 0
	v_add_co_u32 v2, vcc_lo, v12, v2
	v_add_co_ci_u32_e32 v3, vcc_lo, 0, v3, vcc_lo
	v_add_co_u32 v2, vcc_lo, v2, v8
	v_add_co_ci_u32_e32 v2, vcc_lo, v3, v9, vcc_lo
	v_add_co_ci_u32_e32 v3, vcc_lo, 0, v11, vcc_lo
	v_add_co_u32 v8, vcc_lo, v2, v10
	v_add_co_ci_u32_e32 v9, vcc_lo, 0, v3, vcc_lo
	v_mul_lo_u32 v10, s29, v8
	v_mad_u64_u32 v[2:3], null, s28, v8, 0
	v_mul_lo_u32 v11, s28, v9
	v_sub_co_u32 v2, vcc_lo, v6, v2
	v_add3_u32 v3, v3, v11, v10
	v_sub_nc_u32_e32 v10, v7, v3
	v_subrev_co_ci_u32_e64 v10, s0, s29, v10, vcc_lo
	v_add_co_u32 v11, s0, v8, 2
	v_add_co_ci_u32_e64 v12, s0, 0, v9, s0
	v_sub_co_u32 v13, s0, v2, s28
	v_sub_co_ci_u32_e32 v3, vcc_lo, v7, v3, vcc_lo
	v_subrev_co_ci_u32_e64 v10, s0, 0, v10, s0
	v_cmp_le_u32_e32 vcc_lo, s28, v13
	v_cmp_eq_u32_e64 s0, s29, v3
	v_cndmask_b32_e64 v13, 0, -1, vcc_lo
	v_cmp_le_u32_e32 vcc_lo, s29, v10
	v_cndmask_b32_e64 v14, 0, -1, vcc_lo
	v_cmp_le_u32_e32 vcc_lo, s28, v2
	;; [unrolled: 2-line block ×3, first 2 shown]
	v_cndmask_b32_e64 v15, 0, -1, vcc_lo
	v_cmp_eq_u32_e32 vcc_lo, s29, v10
	v_cndmask_b32_e64 v2, v15, v2, s0
	v_cndmask_b32_e32 v10, v14, v13, vcc_lo
	v_add_co_u32 v13, vcc_lo, v8, 1
	v_add_co_ci_u32_e32 v14, vcc_lo, 0, v9, vcc_lo
	v_cmp_ne_u32_e32 vcc_lo, 0, v10
	v_cndmask_b32_e32 v3, v14, v12, vcc_lo
	v_cndmask_b32_e32 v10, v13, v11, vcc_lo
	v_cmp_ne_u32_e32 vcc_lo, 0, v2
	v_cndmask_b32_e32 v61, v9, v3, vcc_lo
	v_cndmask_b32_e32 v60, v8, v10, vcc_lo
.LBB0_4:                                ;   in Loop: Header=BB0_2 Depth=1
	s_andn2_saveexec_b32 s0, s1
	s_cbranch_execz .LBB0_6
; %bb.5:                                ;   in Loop: Header=BB0_2 Depth=1
	v_cvt_f32_u32_e32 v2, s28
	s_sub_i32 s1, 0, s28
	v_mov_b32_e32 v61, v1
	v_rcp_iflag_f32_e32 v2, v2
	v_mul_f32_e32 v2, 0x4f7ffffe, v2
	v_cvt_u32_f32_e32 v2, v2
	v_mul_lo_u32 v3, s1, v2
	v_mul_hi_u32 v3, v2, v3
	v_add_nc_u32_e32 v2, v2, v3
	v_mul_hi_u32 v2, v6, v2
	v_mul_lo_u32 v3, v2, s28
	v_add_nc_u32_e32 v8, 1, v2
	v_sub_nc_u32_e32 v3, v6, v3
	v_subrev_nc_u32_e32 v9, s28, v3
	v_cmp_le_u32_e32 vcc_lo, s28, v3
	v_cndmask_b32_e32 v3, v3, v9, vcc_lo
	v_cndmask_b32_e32 v2, v2, v8, vcc_lo
	v_cmp_le_u32_e32 vcc_lo, s28, v3
	v_add_nc_u32_e32 v8, 1, v2
	v_cndmask_b32_e32 v60, v2, v8, vcc_lo
.LBB0_6:                                ;   in Loop: Header=BB0_2 Depth=1
	s_or_b32 exec_lo, exec_lo, s0
	v_mul_lo_u32 v8, v61, s28
	v_mul_lo_u32 v9, v60, s29
	s_load_dwordx2 s[0:1], s[22:23], 0x0
	v_mad_u64_u32 v[2:3], null, v60, s28, 0
	s_load_dwordx2 s[28:29], s[6:7], 0x0
	s_add_u32 s26, s26, 1
	s_addc_u32 s27, s27, 0
	s_add_u32 s6, s6, 8
	s_addc_u32 s7, s7, 0
	s_add_u32 s22, s22, 8
	v_add3_u32 v3, v3, v9, v8
	v_sub_co_u32 v2, vcc_lo, v6, v2
	s_addc_u32 s23, s23, 0
	s_add_u32 s24, s24, 8
	v_sub_co_ci_u32_e32 v3, vcc_lo, v7, v3, vcc_lo
	s_addc_u32 s25, s25, 0
	s_waitcnt lgkmcnt(0)
	v_mul_lo_u32 v6, s0, v3
	v_mul_lo_u32 v7, s1, v2
	v_mad_u64_u32 v[4:5], null, s0, v2, v[4:5]
	v_mul_lo_u32 v3, s28, v3
	v_mul_lo_u32 v8, s29, v2
	v_mad_u64_u32 v[56:57], null, s28, v2, v[56:57]
	v_cmp_ge_u64_e64 s0, s[26:27], s[14:15]
	v_add3_u32 v5, v7, v5, v6
	v_add3_u32 v57, v8, v57, v3
	s_and_b32 vcc_lo, exec_lo, s0
	s_cbranch_vccnz .LBB0_8
; %bb.7:                                ;   in Loop: Header=BB0_2 Depth=1
	v_mov_b32_e32 v6, v60
	v_mov_b32_e32 v7, v61
	s_branch .LBB0_2
.LBB0_8:
	s_load_dwordx2 s[0:1], s[4:5], 0x28
	v_mul_hi_u32 v1, 0x3483484, v0
	s_lshl_b64 s[6:7], s[14:15], 3
                                        ; implicit-def: $vgpr58
                                        ; implicit-def: $vgpr62
                                        ; implicit-def: $vgpr64
                                        ; implicit-def: $vgpr66
                                        ; implicit-def: $vgpr68
	s_add_u32 s4, s18, s6
	s_addc_u32 s5, s19, s7
	s_waitcnt lgkmcnt(0)
	v_cmp_gt_u64_e32 vcc_lo, s[0:1], v[60:61]
	v_cmp_le_u64_e64 s0, s[0:1], v[60:61]
	s_and_saveexec_b32 s1, s0
	s_xor_b32 s0, exec_lo, s1
; %bb.9:
	v_mul_u32_u24_e32 v1, 0x4e, v1
                                        ; implicit-def: $vgpr4_vgpr5
	v_sub_nc_u32_e32 v58, v0, v1
                                        ; implicit-def: $vgpr1
                                        ; implicit-def: $vgpr0
	v_add_nc_u32_e32 v62, 0x4e, v58
	v_add_nc_u32_e32 v64, 0x9c, v58
	;; [unrolled: 1-line block ×4, first 2 shown]
; %bb.10:
	s_or_saveexec_b32 s1, s0
                                        ; implicit-def: $vgpr34_vgpr35
                                        ; implicit-def: $vgpr22_vgpr23
                                        ; implicit-def: $vgpr38_vgpr39
                                        ; implicit-def: $vgpr26_vgpr27
                                        ; implicit-def: $vgpr42_vgpr43
                                        ; implicit-def: $vgpr30_vgpr31
                                        ; implicit-def: $vgpr14_vgpr15
                                        ; implicit-def: $vgpr10_vgpr11
                                        ; implicit-def: $vgpr6_vgpr7
                                        ; implicit-def: $vgpr2_vgpr3
	s_xor_b32 exec_lo, exec_lo, s1
	s_cbranch_execz .LBB0_12
; %bb.11:
	s_add_u32 s6, s16, s6
	s_addc_u32 s7, s17, s7
	v_mul_u32_u24_e32 v1, 0x4e, v1
	s_load_dwordx2 s[6:7], s[6:7], 0x0
	v_lshlrev_b64 v[4:5], 4, v[4:5]
	v_sub_nc_u32_e32 v58, v0, v1
	v_add_nc_u32_e32 v14, 0x186, v58
	v_add_nc_u32_e32 v62, 0x4e, v58
	v_mad_u64_u32 v[0:1], null, s20, v58, 0
	v_add_nc_u32_e32 v17, 0x1d4, v58
	v_mad_u64_u32 v[2:3], null, s20, v14, 0
	v_mad_u64_u32 v[6:7], null, s20, v62, 0
	;; [unrolled: 1-line block ×3, first 2 shown]
	s_waitcnt lgkmcnt(0)
	v_mul_lo_u32 v15, s7, v60
	v_mul_lo_u32 v18, s6, v61
	v_mad_u64_u32 v[10:11], null, s6, v60, 0
	v_mad_u64_u32 v[12:13], null, s21, v58, v[1:2]
	v_mov_b32_e32 v1, v3
	v_mov_b32_e32 v3, v7
	;; [unrolled: 1-line block ×3, first 2 shown]
	v_add_nc_u32_e32 v64, 0x9c, v58
	v_add3_u32 v11, v11, v18, v15
	v_mad_u64_u32 v[13:14], null, s21, v14, v[1:2]
	v_mad_u64_u32 v[14:15], null, s21, v62, v[3:4]
	v_lshlrev_b64 v[9:10], 4, v[10:11]
	v_mov_b32_e32 v1, v12
	v_mad_u64_u32 v[11:12], null, s21, v17, v[7:8]
	v_mov_b32_e32 v3, v13
	v_mad_u64_u32 v[17:18], null, s20, v64, 0
	v_add_co_u32 v9, s0, s8, v9
	v_add_co_ci_u32_e64 v10, s0, s9, v10, s0
	v_lshlrev_b64 v[0:1], 4, v[0:1]
	v_mov_b32_e32 v7, v14
	v_add_co_u32 v36, s0, v9, v4
	v_add_co_ci_u32_e64 v37, s0, v10, v5, s0
	v_lshlrev_b64 v[2:3], 4, v[2:3]
	v_add_nc_u32_e32 v15, 0x222, v58
	v_add_co_u32 v0, s0, v36, v0
	v_lshlrev_b64 v[12:13], 4, v[6:7]
	v_mov_b32_e32 v9, v11
	v_add_co_ci_u32_e64 v1, s0, v37, v1, s0
	v_add_co_u32 v4, s0, v36, v2
	v_mad_u64_u32 v[19:20], null, s20, v15, 0
	v_add_co_ci_u32_e64 v5, s0, v37, v3, s0
	v_add_co_u32 v10, s0, v36, v12
	v_mov_b32_e32 v12, v18
	v_lshlrev_b64 v[8:9], 4, v[8:9]
	v_add_co_ci_u32_e64 v11, s0, v37, v13, s0
	v_add_nc_u32_e32 v66, 0xea, v58
	v_mad_u64_u32 v[12:13], null, s21, v64, v[12:13]
	v_add_co_u32 v13, s0, v36, v8
	v_mov_b32_e32 v8, v20
	v_add_nc_u32_e32 v28, 0x270, v58
	v_mad_u64_u32 v[21:22], null, s20, v66, 0
	v_add_nc_u32_e32 v68, 0x138, v58
	v_mad_u64_u32 v[23:24], null, s21, v15, v[8:9]
	v_mad_u64_u32 v[24:25], null, s20, v28, 0
	v_add_nc_u32_e32 v31, 0x2be, v58
	v_mad_u64_u32 v[26:27], null, s20, v68, 0
	v_mov_b32_e32 v18, v12
	v_mov_b32_e32 v20, v23
	v_mad_u64_u32 v[22:23], null, s21, v66, v[22:23]
	v_mov_b32_e32 v23, v25
	v_lshlrev_b64 v[17:18], 4, v[17:18]
	v_lshlrev_b64 v[19:20], 4, v[19:20]
	v_add_co_ci_u32_e64 v14, s0, v37, v9, s0
	v_mad_u64_u32 v[28:29], null, s21, v28, v[23:24]
	v_mad_u64_u32 v[29:30], null, s20, v31, 0
	v_mov_b32_e32 v23, v27
	v_add_co_u32 v17, s0, v36, v17
	v_lshlrev_b64 v[21:22], 4, v[21:22]
	v_mov_b32_e32 v25, v28
	v_mad_u64_u32 v[27:28], null, s21, v68, v[23:24]
	v_mov_b32_e32 v23, v30
	v_add_co_ci_u32_e64 v18, s0, v37, v18, s0
	v_add_co_u32 v19, s0, v36, v19
	v_mad_u64_u32 v[30:31], null, s21, v31, v[23:24]
	v_lshlrev_b64 v[23:24], 4, v[24:25]
	v_add_co_ci_u32_e64 v20, s0, v37, v20, s0
	v_add_co_u32 v21, s0, v36, v21
	v_add_co_ci_u32_e64 v22, s0, v37, v22, s0
	v_lshlrev_b64 v[25:26], 4, v[26:27]
	v_add_co_u32 v32, s0, v36, v23
	v_add_co_ci_u32_e64 v33, s0, v37, v24, s0
	v_lshlrev_b64 v[23:24], 4, v[29:30]
	v_add_co_u32 v34, s0, v36, v25
	v_add_co_ci_u32_e64 v35, s0, v37, v26, s0
	s_clause 0x1
	global_load_dwordx4 v[0:3], v[0:1], off
	global_load_dwordx4 v[4:7], v[4:5], off
	v_add_co_u32 v44, s0, v36, v23
	s_clause 0x1
	global_load_dwordx4 v[8:11], v[10:11], off
	global_load_dwordx4 v[12:15], v[13:14], off
	v_add_co_ci_u32_e64 v45, s0, v37, v24, s0
	s_clause 0x5
	global_load_dwordx4 v[28:31], v[17:18], off
	global_load_dwordx4 v[40:43], v[19:20], off
	;; [unrolled: 1-line block ×6, first 2 shown]
.LBB0_12:
	s_or_b32 exec_lo, exec_lo, s1
	s_waitcnt vmcnt(8)
	v_add_f64 v[46:47], v[0:1], -v[4:5]
	v_mul_hi_u32 v4, 0xaaaaaaab, v16
	s_waitcnt vmcnt(6)
	v_add_f64 v[50:51], v[8:9], -v[12:13]
	s_waitcnt vmcnt(4)
	v_add_f64 v[54:55], v[28:29], -v[40:41]
	;; [unrolled: 2-line block ×4, first 2 shown]
	v_lshlrev_b32_e32 v12, 3, v62
	v_lshlrev_b32_e32 v13, 3, v64
	s_load_dwordx2 s[4:5], s[4:5], 0x0
	v_lshrrev_b32_e32 v4, 1, v4
	v_cmp_gt_u32_e64 s1, 26, v58
	v_lshlrev_b32_e32 v63, 3, v66
                                        ; implicit-def: $vgpr32_vgpr33
                                        ; implicit-def: $vgpr40_vgpr41
	v_lshl_add_u32 v4, v4, 1, v4
	v_sub_nc_u32_e32 v4, v16, v4
	v_fma_f64 v[44:45], v[0:1], 2.0, -v[46:47]
	v_mul_u32_u24_e32 v36, 0x30c, v4
	v_fma_f64 v[48:49], v[8:9], 2.0, -v[50:51]
	v_fma_f64 v[52:53], v[28:29], 2.0, -v[54:55]
	;; [unrolled: 1-line block ×4, first 2 shown]
	v_lshlrev_b32_e32 v59, 3, v36
	v_lshlrev_b32_e32 v8, 3, v58
	v_lshl_add_u32 v24, v66, 4, 0
	v_add_nc_u32_e32 v4, 0, v59
	v_add_nc_u32_e32 v1, v24, v59
	v_lshl_add_u32 v29, v58, 4, v4
	v_lshl_add_u32 v9, v62, 4, v4
	;; [unrolled: 1-line block ×3, first 2 shown]
	v_add_nc_u32_e32 v83, v4, v8
	v_lshl_add_u32 v0, v68, 4, v4
	v_sub_nc_u32_e32 v84, v29, v8
	v_sub_nc_u32_e32 v85, v9, v12
	;; [unrolled: 1-line block ×3, first 2 shown]
	ds_write_b128 v29, v[44:47]
	ds_write_b128 v9, v[48:51]
	;; [unrolled: 1-line block ×5, first 2 shown]
	s_waitcnt lgkmcnt(0)
	v_add_nc_u32_e32 v8, 0x800, v84
	v_add_nc_u32_e32 v28, 0xc00, v84
	s_barrier
	buffer_gl0_inv
	v_add_nc_u32_e32 v4, 0x1000, v84
	ds_read_b64 v[20:21], v83
	ds_read_b64 v[16:17], v85
	;; [unrolled: 1-line block ×3, first 2 shown]
	ds_read2_b64 v[52:55], v8 offset0:4 offset1:82
	ds_read2_b64 v[44:47], v28 offset0:32 offset1:136
	ds_read2_b64 v[48:51], v4 offset0:86 offset1:164
	s_and_saveexec_b32 s0, s1
	s_cbranch_execz .LBB0_14
; %bb.13:
	v_sub_nc_u32_e32 v18, v24, v63
	v_lshl_add_u32 v18, v36, 3, v18
	ds_read_b64 v[40:41], v84 offset:3952
	ds_read_b64 v[18:19], v18
	ds_read_b64 v[32:33], v84 offset:6032
.LBB0_14:
	s_or_b32 exec_lo, exec_lo, s0
	v_add_f64 v[36:37], v[2:3], -v[6:7]
	v_add_f64 v[71:72], v[10:11], -v[14:15]
	;; [unrolled: 1-line block ×5, first 2 shown]
	s_waitcnt lgkmcnt(0)
	s_barrier
	buffer_gl0_inv
                                        ; implicit-def: $vgpr14_vgpr15
	v_fma_f64 v[34:35], v[2:3], 2.0, -v[36:37]
	v_fma_f64 v[69:70], v[10:11], 2.0, -v[71:72]
	;; [unrolled: 1-line block ×5, first 2 shown]
	ds_write_b128 v29, v[34:37]
	ds_write_b128 v9, v[69:72]
	;; [unrolled: 1-line block ×5, first 2 shown]
	s_waitcnt lgkmcnt(0)
	s_barrier
	buffer_gl0_inv
	ds_read2_b64 v[8:11], v8 offset0:4 offset1:82
	ds_read2_b64 v[0:3], v28 offset0:32 offset1:136
	;; [unrolled: 1-line block ×3, first 2 shown]
	ds_read_b64 v[30:31], v83
	ds_read_b64 v[28:29], v85
	;; [unrolled: 1-line block ×3, first 2 shown]
                                        ; implicit-def: $vgpr22_vgpr23
	s_and_saveexec_b32 s0, s1
	s_cbranch_execz .LBB0_16
; %bb.15:
	v_add3_u32 v14, 0, v63, v59
	ds_read_b64 v[22:23], v84 offset:3952
	ds_read_b64 v[24:25], v14
	ds_read_b64 v[14:15], v84 offset:6032
.LBB0_16:
	s_or_b32 exec_lo, exec_lo, s0
	v_and_b32_e32 v65, 1, v58
	s_mov_b32 s6, 0xe8584caa
	s_mov_b32 s7, 0x3febb67a
	;; [unrolled: 1-line block ×4, first 2 shown]
	v_lshlrev_b32_e32 v34, 5, v65
	s_clause 0x1
	global_load_dwordx4 v[75:78], v34, s[12:13]
	global_load_dwordx4 v[79:82], v34, s[12:13] offset:16
	s_waitcnt vmcnt(0) lgkmcnt(0)
	s_barrier
	buffer_gl0_inv
	v_mul_f64 v[34:35], v[8:9], v[77:78]
	v_mul_f64 v[36:37], v[2:3], v[81:82]
	;; [unrolled: 1-line block ×16, first 2 shown]
	v_fma_f64 v[52:53], v[52:53], v[75:76], -v[34:35]
	v_fma_f64 v[69:70], v[46:47], v[79:80], -v[36:37]
	;; [unrolled: 1-line block ×8, first 2 shown]
	v_fma_f64 v[48:49], v[8:9], v[75:76], v[91:92]
	v_fma_f64 v[32:33], v[2:3], v[79:80], v[93:94]
	;; [unrolled: 1-line block ×8, first 2 shown]
	v_add_f64 v[8:9], v[20:21], v[52:53]
	v_add_f64 v[0:1], v[52:53], v[69:70]
	;; [unrolled: 1-line block ×8, first 2 shown]
	v_add_f64 v[14:15], v[48:49], -v[32:33]
	v_add_f64 v[87:88], v[71:72], -v[46:47]
	;; [unrolled: 1-line block ×4, first 2 shown]
	v_add_f64 v[50:51], v[8:9], v[69:70]
	v_fma_f64 v[81:82], v[0:1], -0.5, v[20:21]
	v_lshrrev_b32_e32 v1, 1, v62
	v_fma_f64 v[2:3], v[2:3], -0.5, v[16:17]
	v_lshrrev_b32_e32 v0, 1, v58
	v_fma_f64 v[12:13], v[4:5], -0.5, v[12:13]
	v_lshrrev_b32_e32 v4, 1, v64
	v_fma_f64 v[93:94], v[6:7], -0.5, v[18:19]
	v_mul_lo_u32 v95, v1, 6
	v_mul_u32_u24_e32 v67, 6, v0
	v_add_f64 v[0:1], v[79:80], v[40:41]
	v_mul_lo_u32 v96, v4, 6
	v_add_f64 v[4:5], v[10:11], v[42:43]
	v_add_f64 v[10:11], v[22:23], v[44:45]
	v_or_b32_e32 v79, v96, v65
	v_fma_f64 v[20:21], v[14:15], s[6:7], v[81:82]
	v_fma_f64 v[22:23], v[14:15], s[8:9], v[81:82]
	;; [unrolled: 1-line block ×8, first 2 shown]
	v_or_b32_e32 v14, v67, v65
	v_or_b32_e32 v15, v95, v65
	v_lshlrev_b32_e32 v81, 3, v79
	v_lshrrev_b32_e32 v67, 1, v66
	v_lshlrev_b32_e32 v14, 3, v14
	v_lshlrev_b32_e32 v15, 3, v15
	v_add3_u32 v81, 0, v81, v59
	v_add3_u32 v79, 0, v14, v59
	;; [unrolled: 1-line block ×3, first 2 shown]
	ds_write2_b64 v79, v[50:51], v[20:21] offset1:2
	ds_write_b64 v79, v[22:23] offset:32
	ds_write2_b64 v80, v[4:5], v[6:7] offset1:2
	ds_write_b64 v80, v[8:9] offset:32
	;; [unrolled: 2-line block ×3, first 2 shown]
	s_and_saveexec_b32 s0, s1
	s_cbranch_execz .LBB0_18
; %bb.17:
	v_mul_lo_u32 v14, v67, 6
	v_or_b32_e32 v14, v14, v65
	v_lshlrev_b32_e32 v14, 3, v14
	v_add3_u32 v14, 0, v14, v59
	ds_write2_b64 v14, v[0:1], v[2:3] offset1:2
	ds_write_b64 v14, v[12:13] offset:32
.LBB0_18:
	s_or_b32 exec_lo, exec_lo, s0
	v_cmp_gt_u32_e64 s0, 60, v58
	s_waitcnt lgkmcnt(0)
	s_barrier
	buffer_gl0_inv
	s_and_saveexec_b32 s6, s0
	s_cbranch_execz .LBB0_20
; %bb.19:
	v_add_nc_u32_e32 v0, 0x800, v84
	v_add_nc_u32_e32 v12, 0x1000, v84
	ds_read_b64 v[50:51], v83
	ds_read2_b64 v[20:23], v84 offset0:60 offset1:120
	ds_read2_b64 v[4:7], v84 offset0:180 offset1:240
	;; [unrolled: 1-line block ×6, first 2 shown]
.LBB0_20:
	s_or_b32 exec_lo, exec_lo, s6
	v_add_f64 v[87:88], v[48:49], v[32:33]
	v_add_f64 v[89:90], v[71:72], v[46:47]
	;; [unrolled: 1-line block ×5, first 2 shown]
	v_add_f64 v[52:53], v[52:53], -v[69:70]
	v_add_f64 v[69:70], v[28:29], v[71:72]
	v_add_f64 v[71:72], v[26:27], v[73:74]
	;; [unrolled: 1-line block ×3, first 2 shown]
	v_add_f64 v[36:37], v[36:37], -v[42:43]
	v_add_f64 v[38:39], v[38:39], -v[44:45]
	s_mov_b32 s6, 0xe8584caa
	s_mov_b32 s7, 0xbfebb67a
	;; [unrolled: 1-line block ×4, first 2 shown]
	s_waitcnt lgkmcnt(0)
	s_barrier
	buffer_gl0_inv
	v_fma_f64 v[77:78], v[87:88], -0.5, v[30:31]
	v_fma_f64 v[28:29], v[89:90], -0.5, v[28:29]
	v_fma_f64 v[26:27], v[91:92], -0.5, v[26:27]
	v_add_f64 v[87:88], v[34:35], -v[40:41]
	v_fma_f64 v[89:90], v[93:94], -0.5, v[24:25]
	v_add_f64 v[48:49], v[48:49], v[32:33]
	v_add_f64 v[32:33], v[69:70], v[46:47]
	;; [unrolled: 1-line block ×4, first 2 shown]
	v_fma_f64 v[44:45], v[52:53], s[6:7], v[77:78]
	v_fma_f64 v[46:47], v[52:53], s[8:9], v[77:78]
	;; [unrolled: 1-line block ×8, first 2 shown]
	ds_write2_b64 v79, v[48:49], v[44:45] offset1:2
	ds_write_b64 v79, v[46:47] offset:32
	ds_write2_b64 v80, v[32:33], v[34:35] offset1:2
	ds_write_b64 v80, v[28:29] offset:32
	;; [unrolled: 2-line block ×3, first 2 shown]
	s_and_saveexec_b32 s6, s1
	s_cbranch_execz .LBB0_22
; %bb.21:
	v_mul_lo_u32 v38, v67, 6
	v_or_b32_e32 v38, v38, v65
	v_lshlrev_b32_e32 v38, 3, v38
	v_add3_u32 v38, 0, v38, v59
	ds_write2_b64 v38, v[24:25], v[26:27] offset1:2
	ds_write_b64 v38, v[36:37] offset:32
.LBB0_22:
	s_or_b32 exec_lo, exec_lo, s6
	s_waitcnt lgkmcnt(0)
	s_barrier
	buffer_gl0_inv
	s_and_saveexec_b32 s1, s0
	s_cbranch_execz .LBB0_24
; %bb.23:
	v_add_nc_u32_e32 v24, 0x800, v84
	v_add_nc_u32_e32 v36, 0x1000, v84
	ds_read_b64 v[48:49], v83
	ds_read2_b64 v[44:47], v84 offset0:60 offset1:120
	ds_read2_b64 v[32:35], v84 offset0:180 offset1:240
	ds_read2_b64 v[28:31], v24 offset0:44 offset1:104
	ds_read2_b64 v[40:43], v24 offset0:164 offset1:224
	ds_read2_b64 v[24:27], v36 offset0:28 offset1:88
	ds_read2_b64 v[36:39], v36 offset0:148 offset1:208
.LBB0_24:
	s_or_b32 exec_lo, exec_lo, s1
	v_and_b32_e32 v52, 0xff, v58
	v_mov_b32_e32 v53, 12
	v_mul_lo_u16 v52, 0xab, v52
	v_lshrrev_b16 v67, 10, v52
	v_mul_lo_u16 v52, v67, 6
	v_and_b32_e32 v67, 0xffff, v67
	v_sub_nc_u16 v65, v58, v52
	v_mul_u32_u24_sdwa v52, v65, v53 dst_sel:DWORD dst_unused:UNUSED_PAD src0_sel:BYTE_0 src1_sel:DWORD
	v_lshlrev_b32_e32 v73, 4, v52
	s_clause 0xb
	global_load_dwordx4 v[52:55], v73, s[12:13] offset:64
	global_load_dwordx4 v[69:72], v73, s[12:13] offset:80
	;; [unrolled: 1-line block ×12, first 2 shown]
	s_waitcnt vmcnt(0) lgkmcnt(0)
	s_barrier
	buffer_gl0_inv
	v_mul_f64 v[73:74], v[44:45], v[54:55]
	v_mul_f64 v[54:55], v[20:21], v[54:55]
	;; [unrolled: 1-line block ×24, first 2 shown]
	v_fma_f64 v[75:76], v[20:21], v[52:53], -v[73:74]
	v_fma_f64 v[77:78], v[44:45], v[52:53], v[54:55]
	v_fma_f64 v[71:72], v[22:23], v[69:70], -v[123:124]
	v_fma_f64 v[73:74], v[46:47], v[69:70], v[125:126]
	;; [unrolled: 2-line block ×12, first 2 shown]
	s_and_saveexec_b32 s1, s0
	s_cbranch_execz .LBB0_26
; %bb.25:
	v_add_f64 v[2:3], v[50:51], v[75:76]
	v_add_f64 v[0:1], v[77:78], -v[8:9]
	s_mov_b32 s20, 0x4bc48dbf
	s_mov_b32 s24, 0x24c2f84
	;; [unrolled: 1-line block ×4, first 2 shown]
	v_add_f64 v[4:5], v[73:74], -v[10:11]
	v_add_f64 v[6:7], v[75:76], v[36:37]
	s_mov_b32 s6, 0x66966769
	s_mov_b32 s14, 0xd0032e0c
	;; [unrolled: 1-line block ×4, first 2 shown]
	v_add_f64 v[12:13], v[32:33], -v[20:21]
	v_add_f64 v[14:15], v[34:35], -v[18:19]
	s_mov_b32 s15, 0xbfe7f3cc
	s_mov_b32 s43, 0x3fddbe06
	;; [unrolled: 1-line block ×4, first 2 shown]
	v_add_f64 v[87:88], v[44:45], -v[16:17]
	v_add_f64 v[89:90], v[28:29], -v[22:23]
	v_add_f64 v[38:39], v[71:72], v[26:27]
	s_mov_b32 s28, 0x2ef20147
	v_add_f64 v[2:3], v[2:3], v[71:72]
	v_mul_f64 v[79:80], v[0:1], s[20:21]
	v_mul_f64 v[81:82], v[0:1], s[24:25]
	s_mov_b32 s29, 0xbfedeba7
	s_mov_b32 s8, 0xebaa3ed8
	v_mul_f64 v[105:106], v[0:1], s[28:29]
	v_mul_f64 v[97:98], v[4:5], s[42:43]
	;; [unrolled: 1-line block ×3, first 2 shown]
	s_mov_b32 s30, 0x42a4c3d2
	s_mov_b32 s22, 0xe00740e9
	;; [unrolled: 1-line block ×9, first 2 shown]
	v_mul_f64 v[119:120], v[12:13], s[42:43]
	v_mul_f64 v[121:122], v[87:88], s[42:43]
	;; [unrolled: 1-line block ×4, first 2 shown]
	s_mov_b32 s43, 0xbfddbe06
	v_add_f64 v[2:3], v[2:3], v[69:70]
	v_fma_f64 v[99:100], v[6:7], s[18:19], v[79:80]
	v_fma_f64 v[79:80], v[6:7], s[18:19], -v[79:80]
	v_fma_f64 v[103:104], v[6:7], s[14:15], v[81:82]
	v_add_f64 v[91:92], v[69:70], v[24:25]
	v_mul_f64 v[107:108], v[0:1], s[40:41]
	v_mul_f64 v[113:114], v[0:1], s[34:35]
	;; [unrolled: 1-line block ×3, first 2 shown]
	v_fma_f64 v[81:82], v[6:7], s[14:15], -v[81:82]
	v_fma_f64 v[123:124], v[38:39], s[22:23], v[97:98]
	v_mul_f64 v[129:130], v[87:88], s[34:35]
	v_fma_f64 v[97:98], v[38:39], s[22:23], -v[97:98]
	v_fma_f64 v[131:132], v[38:39], s[8:9], v[101:102]
	v_mul_f64 v[0:1], v[0:1], s[42:43]
	s_mov_b32 s16, 0xb2365da1
	s_mov_b32 s17, 0xbfd6b1d8
	;; [unrolled: 1-line block ×4, first 2 shown]
	v_fma_f64 v[139:140], v[6:7], s[16:17], v[105:106]
	v_mul_f64 v[109:110], v[4:5], s[38:39]
	v_fma_f64 v[105:106], v[6:7], s[16:17], -v[105:106]
	s_mov_b32 s26, 0x1ea71119
	v_add_f64 v[2:3], v[2:3], v[54:55]
	v_add_f64 v[99:100], v[50:51], v[99:100]
	;; [unrolled: 1-line block ×4, first 2 shown]
	s_mov_b32 s27, 0x3fe22d96
	s_mov_b32 s37, 0x3fcea1e5
	;; [unrolled: 1-line block ×3, first 2 shown]
	v_add_f64 v[93:94], v[54:55], v[42:43]
	v_mul_f64 v[111:112], v[4:5], s[20:21]
	v_mul_f64 v[115:116], v[4:5], s[28:29]
	;; [unrolled: 1-line block ×5, first 2 shown]
	v_fma_f64 v[141:142], v[6:7], s[8:9], v[107:108]
	v_fma_f64 v[101:102], v[38:39], s[8:9], -v[101:102]
	v_fma_f64 v[107:108], v[6:7], s[8:9], -v[107:108]
	v_add_f64 v[81:82], v[50:51], v[81:82]
	v_fma_f64 v[143:144], v[91:92], s[14:15], v[117:118]
	v_fma_f64 v[149:150], v[6:7], s[26:27], v[113:114]
	v_fma_f64 v[117:118], v[91:92], s[14:15], -v[117:118]
	v_fma_f64 v[113:114], v[6:7], s[26:27], -v[113:114]
	v_fma_f64 v[151:152], v[6:7], s[22:23], v[0:1]
	v_add_f64 v[2:3], v[2:3], v[52:53]
	v_add_f64 v[99:100], v[123:124], v[99:100]
	;; [unrolled: 1-line block ×3, first 2 shown]
	v_fma_f64 v[97:98], v[91:92], s[26:27], v[129:130]
	v_add_f64 v[103:104], v[131:132], v[103:104]
	v_fma_f64 v[147:148], v[38:39], s[14:15], v[109:110]
	v_fma_f64 v[109:110], v[38:39], s[14:15], -v[109:110]
	v_add_f64 v[105:106], v[50:51], v[105:106]
	v_fma_f64 v[0:1], v[6:7], s[22:23], -v[0:1]
	s_mov_b32 s45, 0x3fedeba7
	s_mov_b32 s44, s28
	v_add_f64 v[95:96], v[52:53], v[40:41]
	v_mul_f64 v[137:138], v[12:13], s[28:29]
	v_mul_f64 v[123:124], v[87:88], s[44:45]
	;; [unrolled: 1-line block ×3, first 2 shown]
	v_fma_f64 v[131:132], v[38:39], s[18:19], v[111:112]
	v_fma_f64 v[111:112], v[38:39], s[18:19], -v[111:112]
	v_add_f64 v[139:140], v[50:51], v[139:140]
	v_fma_f64 v[153:154], v[93:94], s[26:27], v[133:134]
	v_add_f64 v[141:142], v[50:51], v[141:142]
	v_add_f64 v[81:82], v[101:102], v[81:82]
	;; [unrolled: 1-line block ×5, first 2 shown]
	v_fma_f64 v[107:108], v[38:39], s[16:17], v[115:116]
	v_fma_f64 v[6:7], v[93:94], s[26:27], -v[133:134]
	v_add_f64 v[133:134], v[50:51], v[149:150]
	v_add_f64 v[79:80], v[117:118], v[79:80]
	v_fma_f64 v[117:118], v[93:94], s[18:19], v[135:136]
	v_add_f64 v[97:98], v[97:98], v[103:104]
	v_fma_f64 v[103:104], v[38:39], s[16:17], -v[115:116]
	v_fma_f64 v[115:116], v[38:39], s[26:27], v[4:5]
	v_add_f64 v[113:114], v[50:51], v[113:114]
	v_add_f64 v[143:144], v[50:51], v[151:152]
	v_fma_f64 v[129:130], v[91:92], s[26:27], -v[129:130]
	v_mul_f64 v[87:88], v[87:88], s[40:41]
	v_fma_f64 v[149:150], v[91:92], s[22:23], v[121:122]
	v_fma_f64 v[121:122], v[91:92], s[22:23], -v[121:122]
	v_add_f64 v[105:106], v[109:110], v[105:106]
	v_fma_f64 v[4:5], v[38:39], s[26:27], -v[4:5]
	v_add_f64 v[0:1], v[50:51], v[0:1]
	v_add_f64 v[139:140], v[147:148], v[139:140]
	;; [unrolled: 1-line block ×6, first 2 shown]
	v_fma_f64 v[111:112], v[95:96], s[16:17], v[137:138]
	v_mul_f64 v[38:39], v[14:15], s[40:41]
	v_add_f64 v[50:51], v[107:108], v[133:134]
	v_add_f64 v[6:7], v[6:7], v[79:80]
	v_fma_f64 v[79:80], v[95:96], s[16:17], -v[137:138]
	v_add_f64 v[97:98], v[117:118], v[97:98]
	v_fma_f64 v[107:108], v[95:96], s[22:23], v[119:120]
	v_fma_f64 v[117:118], v[91:92], s[16:17], v[123:124]
	v_add_f64 v[103:104], v[103:104], v[113:114]
	v_add_f64 v[113:114], v[115:116], v[143:144]
	v_fma_f64 v[115:116], v[91:92], s[16:17], -v[123:124]
	v_fma_f64 v[131:132], v[91:92], s[18:19], -v[145:146]
	v_mul_f64 v[133:134], v[14:15], s[38:39]
	v_add_f64 v[81:82], v[129:130], v[81:82]
	v_fma_f64 v[129:130], v[91:92], s[18:19], v[145:146]
	v_add_f64 v[105:106], v[121:122], v[105:106]
	v_fma_f64 v[121:122], v[91:92], s[8:9], v[87:88]
	v_mul_f64 v[14:15], v[14:15], s[28:29]
	v_fma_f64 v[87:88], v[91:92], s[8:9], -v[87:88]
	v_add_f64 v[0:1], v[4:5], v[0:1]
	v_add_f64 v[2:3], v[2:3], v[40:41]
	v_fma_f64 v[135:136], v[93:94], s[18:19], -v[135:136]
	v_add_f64 v[123:124], v[149:150], v[139:140]
	v_add_f64 v[99:100], v[111:112], v[99:100]
	v_fma_f64 v[4:5], v[93:94], s[8:9], v[38:39]
	v_fma_f64 v[91:92], v[95:96], s[22:23], -v[119:120]
	v_mul_f64 v[111:112], v[12:13], s[36:37]
	v_add_f64 v[6:7], v[79:80], v[6:7]
	v_fma_f64 v[38:39], v[93:94], s[8:9], -v[38:39]
	v_add_f64 v[79:80], v[107:108], v[97:98]
	v_add_f64 v[97:98], v[117:118], v[109:110]
	v_fma_f64 v[107:108], v[93:94], s[22:23], v[125:126]
	v_mul_f64 v[109:110], v[12:13], s[34:35]
	v_add_f64 v[101:102], v[115:116], v[101:102]
	v_fma_f64 v[115:116], v[93:94], s[22:23], -v[125:126]
	v_add_f64 v[103:104], v[131:132], v[103:104]
	v_fma_f64 v[117:118], v[93:94], s[14:15], -v[133:134]
	v_mul_f64 v[119:120], v[12:13], s[6:7]
	v_add_f64 v[50:51], v[129:130], v[50:51]
	v_fma_f64 v[125:126], v[93:94], s[14:15], v[133:134]
	v_add_f64 v[113:114], v[121:122], v[113:114]
	v_fma_f64 v[121:122], v[93:94], s[16:17], v[14:15]
	v_fma_f64 v[14:15], v[93:94], s[16:17], -v[14:15]
	v_mul_f64 v[12:13], v[12:13], s[24:25]
	v_add_f64 v[0:1], v[87:88], v[0:1]
	v_add_f64 v[2:3], v[2:3], v[42:43]
	;; [unrolled: 1-line block ×5, first 2 shown]
	v_fma_f64 v[93:94], v[95:96], s[18:19], v[111:112]
	v_mul_f64 v[123:124], v[89:90], s[6:7]
	v_add_f64 v[38:39], v[38:39], v[105:106]
	v_fma_f64 v[105:106], v[95:96], s[18:19], -v[111:112]
	v_mul_f64 v[111:112], v[89:90], s[28:29]
	v_add_f64 v[97:98], v[107:108], v[97:98]
	v_fma_f64 v[107:108], v[95:96], s[26:27], v[109:110]
	v_add_f64 v[101:102], v[115:116], v[101:102]
	v_fma_f64 v[109:110], v[95:96], s[26:27], -v[109:110]
	v_mul_f64 v[115:116], v[89:90], s[24:25]
	v_add_f64 v[103:104], v[117:118], v[103:104]
	v_fma_f64 v[117:118], v[95:96], s[8:9], -v[119:120]
	v_mul_f64 v[129:130], v[89:90], s[30:31]
	v_add_f64 v[50:51], v[125:126], v[50:51]
	v_fma_f64 v[119:120], v[95:96], s[8:9], v[119:120]
	v_add_f64 v[113:114], v[121:122], v[113:114]
	v_mul_f64 v[89:90], v[89:90], s[20:21]
	v_fma_f64 v[121:122], v[95:96], s[14:15], -v[12:13]
	v_add_f64 v[0:1], v[14:15], v[0:1]
	v_add_f64 v[2:3], v[2:3], v[24:25]
	v_fma_f64 v[12:13], v[95:96], s[14:15], v[12:13]
	v_add_f64 v[14:15], v[91:92], v[81:82]
	v_add_f64 v[4:5], v[93:94], v[4:5]
	v_fma_f64 v[91:92], v[87:88], s[8:9], -v[123:124]
	v_fma_f64 v[81:82], v[87:88], s[8:9], v[123:124]
	v_add_f64 v[38:39], v[105:106], v[38:39]
	v_fma_f64 v[93:94], v[87:88], s[16:17], v[111:112]
	v_fma_f64 v[95:96], v[87:88], s[16:17], -v[111:112]
	v_add_f64 v[97:98], v[107:108], v[97:98]
	v_add_f64 v[101:102], v[109:110], v[101:102]
	v_fma_f64 v[111:112], v[87:88], s[14:15], -v[115:116]
	v_fma_f64 v[109:110], v[87:88], s[14:15], v[115:116]
	v_add_f64 v[103:104], v[117:118], v[103:104]
	v_fma_f64 v[117:118], v[87:88], s[22:23], -v[127:128]
	v_fma_f64 v[107:108], v[87:88], s[26:27], -v[129:130]
	v_fma_f64 v[105:106], v[87:88], s[26:27], v[129:130]
	v_fma_f64 v[115:116], v[87:88], s[22:23], v[127:128]
	v_add_f64 v[50:51], v[119:120], v[50:51]
	v_fma_f64 v[119:120], v[87:88], s[18:19], v[89:90]
	v_fma_f64 v[87:88], v[87:88], s[18:19], -v[89:90]
	v_add_f64 v[0:1], v[121:122], v[0:1]
	v_add_f64 v[2:3], v[2:3], v[26:27]
	v_add_f64 v[12:13], v[12:13], v[113:114]
	v_add_f64 v[6:7], v[91:92], v[6:7]
	v_add_f64 v[81:82], v[81:82], v[99:100]
	v_add_f64 v[79:80], v[93:94], v[79:80]
	v_add_f64 v[14:15], v[95:96], v[14:15]
	v_add_f64 v[89:90], v[111:112], v[101:102]
	v_add_f64 v[93:94], v[109:110], v[97:98]
	v_add_f64 v[91:92], v[117:118], v[103:104]
	v_add_f64 v[38:39], v[107:108], v[38:39]
	v_add_f64 v[4:5], v[105:106], v[4:5]
	v_add_f64 v[50:51], v[115:116], v[50:51]
	v_add_f64 v[0:1], v[87:88], v[0:1]
	v_add_f64 v[2:3], v[2:3], v[36:37]
	v_add_f64 v[12:13], v[119:120], v[12:13]
	v_mov_b32_e32 v87, 3
	v_mad_u32_u24 v88, 0x270, v67, 0
	v_lshlrev_b32_sdwa v87, v87, v65 dst_sel:DWORD dst_unused:UNUSED_PAD src0_sel:DWORD src1_sel:BYTE_0
	v_add3_u32 v87, v88, v87, v59
	ds_write2_b64 v87, v[91:92], v[89:90] offset0:12 offset1:18
	ds_write2_b64 v87, v[38:39], v[14:15] offset0:24 offset1:30
	;; [unrolled: 1-line block ×5, first 2 shown]
	ds_write2_b64 v87, v[2:3], v[0:1] offset1:6
	ds_write_b64 v87, v[12:13] offset:576
.LBB0_26:
	s_or_b32 exec_lo, exec_lo, s1
	v_lshlrev_b32_e32 v0, 3, v68
	v_add_nc_u32_e32 v89, 0x800, v84
	v_add_nc_u32_e32 v90, 0x1000, v84
	v_add3_u32 v88, 0, v63, v59
	s_waitcnt lgkmcnt(0)
	v_add3_u32 v87, 0, v0, v59
	s_barrier
	buffer_gl0_inv
	ds_read_b64 v[12:13], v83
	ds_read2_b64 v[0:3], v89 offset0:134 offset1:212
	ds_read2_b64 v[4:7], v90 offset0:34 offset1:112
	ds_read_b64 v[79:80], v87
	ds_read_b64 v[38:39], v88
	;; [unrolled: 1-line block ×4, first 2 shown]
	ds_read_b64 v[50:51], v84 offset:5616
	s_waitcnt lgkmcnt(0)
	s_barrier
	buffer_gl0_inv
	s_and_saveexec_b32 s33, s0
	s_cbranch_execz .LBB0_28
; %bb.27:
	v_add_f64 v[91:92], v[48:49], v[77:78]
	v_add_f64 v[36:37], v[75:76], -v[36:37]
	v_add_f64 v[26:27], v[71:72], -v[26:27]
	v_add_f64 v[71:72], v[44:45], v[16:17]
	v_add_f64 v[24:25], v[69:70], -v[24:25]
	v_add_f64 v[69:70], v[34:35], v[18:19]
	s_mov_b32 s26, 0x42a4c3d2
	s_mov_b32 s34, 0x66966769
	;; [unrolled: 1-line block ×11, first 2 shown]
	v_add_f64 v[77:78], v[77:78], v[8:9]
	s_mov_b32 s29, 0xbfcea1e5
	v_add_f64 v[30:31], v[46:47], -v[30:31]
	v_add_f64 v[42:43], v[54:55], -v[42:43]
	v_add_f64 v[54:55], v[32:33], v[20:21]
	v_add_f64 v[75:76], v[91:92], v[73:74]
	v_mul_f64 v[46:47], v[36:37], s[20:21]
	v_mul_f64 v[91:92], v[36:37], s[34:35]
	;; [unrolled: 1-line block ×4, first 2 shown]
	s_mov_b32 s0, 0xe00740e9
	s_mov_b32 s8, 0x1ea71119
	;; [unrolled: 1-line block ×17, first 2 shown]
	v_add_f64 v[44:45], v[75:76], v[44:45]
	v_mul_f64 v[75:76], v[36:37], s[26:27]
	v_mul_f64 v[36:37], v[36:37], s[28:29]
	v_add_f64 v[73:74], v[73:74], v[10:11]
	v_mul_f64 v[97:98], v[26:27], s[26:27]
	v_mul_f64 v[99:100], v[26:27], s[22:23]
	;; [unrolled: 1-line block ×6, first 2 shown]
	v_fma_f64 v[145:146], v[77:78], s[0:1], v[46:47]
	v_fma_f64 v[147:148], v[77:78], s[6:7], v[91:92]
	v_fma_f64 v[91:92], v[77:78], s[6:7], -v[91:92]
	v_fma_f64 v[149:150], v[77:78], s[14:15], v[93:94]
	v_fma_f64 v[93:94], v[77:78], s[14:15], -v[93:94]
	v_fma_f64 v[151:152], v[77:78], s[16:17], v[95:96]
	v_add_f64 v[40:41], v[52:53], -v[40:41]
	v_add_f64 v[52:53], v[28:29], v[22:23]
	v_fma_f64 v[95:96], v[77:78], s[16:17], -v[95:96]
	s_mov_b32 s41, 0x3fedeba7
	s_mov_b32 s40, s22
	v_mul_f64 v[107:108], v[24:25], s[34:35]
	v_add_f64 v[34:35], v[44:45], v[34:35]
	v_mul_f64 v[109:110], v[24:25], s[28:29]
	v_fma_f64 v[153:154], v[77:78], s[18:19], v[36:37]
	v_fma_f64 v[36:37], v[77:78], s[18:19], -v[36:37]
	v_mul_f64 v[111:112], v[24:25], s[40:41]
	v_mul_f64 v[113:114], v[24:25], s[26:27]
	;; [unrolled: 1-line block ×4, first 2 shown]
	v_fma_f64 v[155:156], v[73:74], s[14:15], v[99:100]
	v_fma_f64 v[99:100], v[73:74], s[14:15], -v[99:100]
	v_fma_f64 v[157:158], v[73:74], s[18:19], v[101:102]
	v_fma_f64 v[101:102], v[73:74], s[18:19], -v[101:102]
	;; [unrolled: 2-line block ×5, first 2 shown]
	v_add_f64 v[91:92], v[48:49], v[91:92]
	v_add_f64 v[93:94], v[48:49], v[93:94]
	;; [unrolled: 1-line block ×3, first 2 shown]
	s_mov_b32 s43, 0x3fcea1e5
	v_add_f64 v[32:33], v[34:35], v[32:33]
	v_fma_f64 v[34:35], v[77:78], s[0:1], -v[46:47]
	v_fma_f64 v[46:47], v[77:78], s[8:9], v[75:76]
	v_fma_f64 v[75:76], v[77:78], s[8:9], -v[75:76]
	v_fma_f64 v[77:78], v[73:74], s[8:9], v[97:98]
	v_fma_f64 v[97:98], v[73:74], s[8:9], -v[97:98]
	v_add_f64 v[73:74], v[48:49], v[145:146]
	v_add_f64 v[145:146], v[48:49], v[147:148]
	v_add_f64 v[147:148], v[48:49], v[149:150]
	v_add_f64 v[149:150], v[48:49], v[151:152]
	v_add_f64 v[151:152], v[48:49], v[153:154]
	v_add_f64 v[36:37], v[48:49], v[36:37]
	s_mov_b32 s39, 0x3fea55e2
	s_mov_b32 s42, s28
	;; [unrolled: 1-line block ×3, first 2 shown]
	v_mul_f64 v[44:45], v[42:43], s[22:23]
	v_mul_f64 v[117:118], v[42:43], s[36:37]
	;; [unrolled: 1-line block ×6, first 2 shown]
	v_fma_f64 v[163:164], v[71:72], s[18:19], v[109:110]
	v_add_f64 v[28:29], v[32:33], v[28:29]
	v_add_f64 v[34:35], v[48:49], v[34:35]
	;; [unrolled: 1-line block ×4, first 2 shown]
	v_fma_f64 v[32:33], v[71:72], s[6:7], v[107:108]
	v_fma_f64 v[107:108], v[71:72], s[6:7], -v[107:108]
	v_fma_f64 v[109:110], v[71:72], s[18:19], -v[109:110]
	v_fma_f64 v[165:166], v[71:72], s[14:15], v[111:112]
	v_fma_f64 v[111:112], v[71:72], s[14:15], -v[111:112]
	v_fma_f64 v[167:168], v[71:72], s[8:9], v[113:114]
	v_fma_f64 v[113:114], v[71:72], s[8:9], -v[113:114]
	v_fma_f64 v[173:174], v[71:72], s[0:1], v[24:25]
	v_fma_f64 v[24:25], v[71:72], s[0:1], -v[24:25]
	v_add_f64 v[93:94], v[103:104], v[93:94]
	v_add_f64 v[26:27], v[26:27], v[36:37]
	;; [unrolled: 1-line block ×3, first 2 shown]
	v_mul_f64 v[127:128], v[40:41], s[30:31]
	v_mul_f64 v[129:130], v[40:41], s[26:27]
	v_fma_f64 v[153:154], v[69:70], s[14:15], v[44:45]
	v_fma_f64 v[44:45], v[69:70], s[14:15], -v[44:45]
	v_fma_f64 v[48:49], v[69:70], s[16:17], v[117:118]
	v_fma_f64 v[117:118], v[69:70], s[16:17], -v[117:118]
	v_add_f64 v[22:23], v[28:29], v[22:23]
	v_fma_f64 v[28:29], v[71:72], s[16:17], v[115:116]
	v_fma_f64 v[115:116], v[71:72], s[16:17], -v[115:116]
	v_add_f64 v[71:72], v[77:78], v[73:74]
	v_add_f64 v[46:47], v[155:156], v[46:47]
	;; [unrolled: 1-line block ×9, first 2 shown]
	v_fma_f64 v[171:172], v[69:70], s[6:7], v[119:120]
	v_fma_f64 v[36:37], v[69:70], s[18:19], v[121:122]
	v_fma_f64 v[103:104], v[69:70], s[18:19], -v[121:122]
	v_fma_f64 v[105:106], v[69:70], s[8:9], v[123:124]
	v_fma_f64 v[97:98], v[69:70], s[8:9], -v[123:124]
	;; [unrolled: 2-line block ×3, first 2 shown]
	v_mul_f64 v[125:126], v[40:41], s[24:25]
	v_mul_f64 v[131:132], v[40:41], s[42:43]
	;; [unrolled: 1-line block ×3, first 2 shown]
	v_add_f64 v[20:21], v[22:23], v[20:21]
	v_fma_f64 v[22:23], v[69:70], s[6:7], -v[119:120]
	v_mul_f64 v[40:41], v[40:41], s[20:21]
	v_add_f64 v[32:33], v[32:33], v[71:72]
	v_add_f64 v[46:47], v[163:164], v[46:47]
	;; [unrolled: 1-line block ×12, first 2 shown]
	v_mul_f64 v[135:136], v[30:31], s[28:29]
	v_mul_f64 v[137:138], v[30:31], s[24:25]
	;; [unrolled: 1-line block ×6, first 2 shown]
	v_fma_f64 v[121:122], v[54:55], s[6:7], v[127:128]
	v_add_f64 v[18:19], v[20:21], v[18:19]
	v_fma_f64 v[20:21], v[54:55], s[6:7], -v[127:128]
	v_fma_f64 v[93:94], v[54:55], s[8:9], v[129:130]
	v_fma_f64 v[99:100], v[54:55], s[18:19], v[131:132]
	v_add_f64 v[46:47], v[48:49], v[46:47]
	v_add_f64 v[48:49], v[117:118], v[69:70]
	;; [unrolled: 1-line block ×3, first 2 shown]
	v_fma_f64 v[111:112], v[54:55], s[0:1], v[40:41]
	v_add_f64 v[71:72], v[171:172], v[75:76]
	v_add_f64 v[22:23], v[22:23], v[24:25]
	;; [unrolled: 1-line block ×3, first 2 shown]
	v_fma_f64 v[107:108], v[54:55], s[14:15], v[133:134]
	v_fma_f64 v[109:110], v[54:55], s[14:15], -v[133:134]
	v_add_f64 v[28:29], v[105:106], v[28:29]
	v_add_f64 v[26:27], v[97:98], v[26:27]
	v_fma_f64 v[101:102], v[54:55], s[18:19], -v[131:132]
	v_fma_f64 v[40:41], v[54:55], s[0:1], -v[40:41]
	v_add_f64 v[36:37], v[103:104], v[91:92]
	v_fma_f64 v[95:96], v[54:55], s[8:9], -v[129:130]
	v_add_f64 v[42:43], v[42:43], v[73:74]
	v_fma_f64 v[119:120], v[54:55], s[16:17], v[125:126]
	v_add_f64 v[32:33], v[153:154], v[32:33]
	v_add_f64 v[16:17], v[18:19], v[16:17]
	v_fma_f64 v[18:19], v[54:55], s[16:17], -v[125:126]
	v_add_f64 v[34:35], v[44:45], v[34:35]
	v_fma_f64 v[73:74], v[52:53], s[16:17], v[137:138]
	v_fma_f64 v[97:98], v[52:53], s[0:1], v[30:31]
	v_fma_f64 v[30:31], v[52:53], s[0:1], -v[30:31]
	v_add_f64 v[46:47], v[121:122], v[46:47]
	v_add_f64 v[20:21], v[20:21], v[48:49]
	;; [unrolled: 1-line block ×3, first 2 shown]
	v_fma_f64 v[75:76], v[52:53], s[8:9], v[139:140]
	v_fma_f64 v[77:78], v[52:53], s[14:15], v[141:142]
	v_add_f64 v[69:70], v[99:100], v[71:72]
	v_add_f64 v[24:25], v[111:112], v[24:25]
	v_fma_f64 v[91:92], v[52:53], s[6:7], v[143:144]
	v_add_f64 v[28:29], v[107:108], v[28:29]
	v_add_f64 v[26:27], v[109:110], v[26:27]
	v_fma_f64 v[44:45], v[52:53], s[8:9], -v[139:140]
	v_add_f64 v[22:23], v[101:102], v[22:23]
	v_add_f64 v[36:37], v[40:41], v[36:37]
	v_fma_f64 v[40:41], v[52:53], s[14:15], -v[141:142]
	v_add_f64 v[42:43], v[95:96], v[42:43]
	v_fma_f64 v[71:72], v[52:53], s[16:17], -v[137:138]
	;; [unrolled: 2-line block ×3, first 2 shown]
	v_fma_f64 v[54:55], v[52:53], s[18:19], v[135:136]
	v_add_f64 v[32:33], v[119:120], v[32:33]
	v_fma_f64 v[52:53], v[52:53], s[18:19], -v[135:136]
	v_add_f64 v[18:19], v[18:19], v[34:35]
	v_add_f64 v[34:35], v[97:98], v[46:47]
	v_add_f64 v[20:21], v[30:31], v[20:21]
	v_add_f64 v[30:31], v[73:74], v[48:49]
	v_add_f64 v[46:47], v[75:76], v[69:70]
	v_add_f64 v[24:25], v[77:78], v[24:25]
	v_add_f64 v[28:29], v[91:92], v[28:29]
	v_add_f64 v[22:23], v[44:45], v[22:23]
	v_add_f64 v[8:9], v[10:11], v[8:9]
	v_add_f64 v[16:17], v[16:17], v[26:27]
	v_add_f64 v[26:27], v[40:41], v[36:37]
	v_add_f64 v[36:37], v[71:72], v[42:43]
	v_add_f64 v[32:33], v[54:55], v[32:33]
	v_add_f64 v[10:11], v[52:53], v[18:19]
	v_mov_b32_e32 v18, 3
	v_mad_u32_u24 v19, 0x270, v67, 0
	v_lshlrev_b32_sdwa v18, v18, v65 dst_sel:DWORD dst_unused:UNUSED_PAD src0_sel:DWORD src1_sel:BYTE_0
	v_add3_u32 v18, v19, v18, v59
	ds_write2_b64 v18, v[34:35], v[30:31] offset0:12 offset1:18
	ds_write2_b64 v18, v[46:47], v[24:25] offset0:24 offset1:30
	;; [unrolled: 1-line block ×5, first 2 shown]
	ds_write2_b64 v18, v[8:9], v[32:33] offset1:6
	ds_write_b64 v18, v[10:11] offset:576
.LBB0_28:
	s_or_b32 exec_lo, exec_lo, s33
	v_lshlrev_b32_e32 v16, 2, v58
	v_mov_b32_e32 v17, 0
	s_waitcnt lgkmcnt(0)
	s_barrier
	buffer_gl0_inv
	s_mov_b32 s8, 0x134454ff
	v_lshlrev_b64 v[8:9], 4, v[16:17]
	s_mov_b32 s9, 0x3fee6f0e
	s_mov_b32 s17, 0xbfee6f0e
	;; [unrolled: 1-line block ×5, first 2 shown]
	v_add_co_u32 v26, s0, s12, v8
	v_add_co_ci_u32_e64 v27, s0, s13, v9, s0
	s_mov_b32 s15, 0xbfe2cf23
	s_mov_b32 s14, s6
	s_clause 0x3
	global_load_dwordx4 v[8:11], v[26:27], off offset:1216
	global_load_dwordx4 v[18:21], v[26:27], off offset:1232
	;; [unrolled: 1-line block ×4, first 2 shown]
	ds_read_b64 v[40:41], v86
	ds_read_b64 v[42:43], v87
	ds_read2_b64 v[30:33], v89 offset0:134 offset1:212
	ds_read2_b64 v[34:37], v90 offset0:34 offset1:112
	ds_read_b64 v[44:45], v88
	ds_read_b64 v[46:47], v84 offset:5616
	ds_read_b64 v[48:49], v85
	ds_read_b64 v[101:102], v83
	s_mov_b32 s0, 0x372fe950
	s_mov_b32 s1, 0x3fd3c6ef
	v_add_nc_u32_e32 v16, 0xc00, v84
	s_waitcnt vmcnt(0) lgkmcnt(0)
	s_barrier
	buffer_gl0_inv
	v_mul_f64 v[54:55], v[81:82], v[10:11]
	v_mul_f64 v[69:70], v[42:43], v[20:21]
	;; [unrolled: 1-line block ×16, first 2 shown]
	v_fma_f64 v[40:41], v[40:41], v[8:9], v[54:55]
	v_fma_f64 v[54:55], v[79:80], v[18:19], -v[69:70]
	v_fma_f64 v[2:3], v[2:3], v[22:23], -v[73:74]
	;; [unrolled: 1-line block ×8, first 2 shown]
	v_fma_f64 v[42:43], v[42:43], v[18:19], v[71:72]
	v_fma_f64 v[32:33], v[32:33], v[22:23], v[75:76]
	;; [unrolled: 1-line block ×7, first 2 shown]
	v_add_f64 v[71:72], v[101:102], v[40:41]
	v_add_f64 v[24:25], v[54:55], v[2:3]
	;; [unrolled: 1-line block ×4, first 2 shown]
	v_add_f64 v[30:31], v[52:53], -v[54:55]
	v_add_f64 v[34:35], v[6:7], -v[2:3]
	v_add_f64 v[73:74], v[0:1], v[4:5]
	v_add_f64 v[77:78], v[38:39], v[50:51]
	v_add_f64 v[46:47], v[54:55], -v[52:53]
	v_add_f64 v[69:70], v[2:3], -v[6:7]
	;; [unrolled: 1-line block ×3, first 2 shown]
	v_add_f64 v[75:76], v[42:43], v[32:33]
	v_add_f64 v[93:94], v[40:41], v[36:37]
	;; [unrolled: 1-line block ×5, first 2 shown]
	v_add_f64 v[28:29], v[42:43], -v[32:33]
	v_add_f64 v[81:82], v[40:41], -v[42:43]
	;; [unrolled: 1-line block ×7, first 2 shown]
	v_fma_f64 v[24:25], v[24:25], -0.5, v[12:13]
	v_add_f64 v[105:106], v[38:39], -v[0:1]
	v_fma_f64 v[12:13], v[44:45], -0.5, v[12:13]
	v_add_f64 v[113:114], v[0:1], -v[38:39]
	v_add_f64 v[44:45], v[48:49], v[8:9]
	v_fma_f64 v[73:74], v[73:74], -0.5, v[14:15]
	v_fma_f64 v[14:15], v[77:78], -0.5, v[14:15]
	v_add_f64 v[38:39], v[38:39], -v[50:51]
	v_add_f64 v[77:78], v[0:1], -v[4:5]
	v_add_f64 v[22:23], v[22:23], v[54:55]
	v_fma_f64 v[54:55], v[75:76], -0.5, v[101:102]
	v_add_f64 v[30:31], v[30:31], v[34:35]
	v_fma_f64 v[34:35], v[93:94], -0.5, v[101:102]
	v_add_f64 v[46:47], v[46:47], v[69:70]
	v_add_f64 v[0:1], v[97:98], v[0:1]
	v_fma_f64 v[69:70], v[107:108], -0.5, v[48:49]
	v_fma_f64 v[48:49], v[111:112], -0.5, v[48:49]
	v_add_f64 v[40:41], v[42:43], -v[40:41]
	v_add_f64 v[42:43], v[71:72], v[42:43]
	v_add_f64 v[71:72], v[81:82], v[91:92]
	v_add_f64 v[95:96], v[32:33], -v[36:37]
	v_add_f64 v[109:110], v[50:51], -v[4:5]
	v_fma_f64 v[75:76], v[26:27], s[8:9], v[24:25]
	v_fma_f64 v[24:25], v[26:27], s[16:17], v[24:25]
	v_fma_f64 v[81:82], v[28:29], s[16:17], v[12:13]
	v_fma_f64 v[12:13], v[28:29], s[8:9], v[12:13]
	v_add_f64 v[115:116], v[4:5], -v[50:51]
	v_fma_f64 v[91:92], v[99:100], s[8:9], v[73:74]
	v_fma_f64 v[93:94], v[103:104], s[16:17], v[14:15]
	;; [unrolled: 1-line block ×4, first 2 shown]
	v_add_f64 v[117:118], v[8:9], -v[10:11]
	v_add_f64 v[119:120], v[20:21], -v[18:19]
	;; [unrolled: 1-line block ×4, first 2 shown]
	v_add_f64 v[10:11], v[44:45], v[10:11]
	v_add_f64 v[2:3], v[22:23], v[2:3]
	v_fma_f64 v[22:23], v[52:53], s[16:17], v[54:55]
	v_fma_f64 v[44:45], v[52:53], s[8:9], v[54:55]
	;; [unrolled: 1-line block ×4, first 2 shown]
	v_add_f64 v[0:1], v[0:1], v[4:5]
	v_fma_f64 v[4:5], v[38:39], s[16:17], v[69:70]
	v_fma_f64 v[101:102], v[77:78], s[8:9], v[48:49]
	;; [unrolled: 1-line block ×7, first 2 shown]
	v_add_f64 v[40:41], v[40:41], v[95:96]
	v_add_f64 v[95:96], v[105:106], v[109:110]
	;; [unrolled: 1-line block ×3, first 2 shown]
	v_fma_f64 v[26:27], v[103:104], s[6:7], v[91:92]
	v_fma_f64 v[81:82], v[99:100], s[6:7], v[93:94]
	;; [unrolled: 1-line block ×5, first 2 shown]
	v_add_f64 v[91:92], v[117:118], v[119:120]
	v_add_f64 v[8:9], v[8:9], v[121:122]
	;; [unrolled: 1-line block ×5, first 2 shown]
	v_fma_f64 v[6:7], v[79:80], s[14:15], v[22:23]
	v_fma_f64 v[18:19], v[79:80], s[6:7], v[44:45]
	;; [unrolled: 1-line block ×10, first 2 shown]
	v_add_f64 v[0:1], v[0:1], v[50:51]
	v_fma_f64 v[24:25], v[30:31], s[0:1], v[24:25]
	v_fma_f64 v[26:27], v[95:96], s[0:1], v[26:27]
	;; [unrolled: 1-line block ×6, first 2 shown]
	ds_write2_b64 v84, v[2:3], v[48:49] offset1:78
	ds_write2_b64 v84, v[28:29], v[12:13] offset0:156 offset1:234
	ds_write2_b64 v89, v[24:25], v[0:1] offset0:56 offset1:134
	;; [unrolled: 1-line block ×4, first 2 shown]
	v_add_f64 v[32:33], v[32:33], v[36:37]
	v_add_f64 v[36:37], v[10:11], v[20:21]
	v_fma_f64 v[50:51], v[71:72], s[0:1], v[6:7]
	v_fma_f64 v[52:53], v[71:72], s[0:1], v[18:19]
	v_fma_f64 v[22:23], v[40:41], s[0:1], v[22:23]
	v_fma_f64 v[34:35], v[40:41], s[0:1], v[34:35]
	v_fma_f64 v[40:41], v[91:92], s[0:1], v[4:5]
	v_fma_f64 v[44:45], v[8:9], s[0:1], v[44:45]
	v_fma_f64 v[38:39], v[8:9], s[0:1], v[38:39]
	s_waitcnt lgkmcnt(0)
	s_barrier
	buffer_gl0_inv
	ds_read_b64 v[10:11], v83
	ds_read2_b64 v[0:3], v89 offset0:134 offset1:212
	ds_read_b64 v[8:9], v86
	ds_read2_b64 v[4:7], v90 offset0:34 offset1:112
	ds_read_b64 v[12:13], v88
	ds_read_b64 v[18:19], v87
	;; [unrolled: 1-line block ×3, first 2 shown]
	ds_read_b64 v[20:21], v84 offset:5616
	v_fma_f64 v[42:43], v[91:92], s[0:1], v[42:43]
	s_waitcnt lgkmcnt(0)
	s_barrier
	buffer_gl0_inv
	ds_write2_b64 v84, v[32:33], v[50:51] offset1:78
	ds_write2_b64 v84, v[22:23], v[34:35] offset0:156 offset1:234
	ds_write2_b64 v89, v[52:53], v[36:37] offset0:56 offset1:134
	;; [unrolled: 1-line block ×4, first 2 shown]
	s_waitcnt lgkmcnt(0)
	s_barrier
	buffer_gl0_inv
	s_and_saveexec_b32 s0, vcc_lo
	s_cbranch_execz .LBB0_30
; %bb.29:
	v_mov_b32_e32 v69, v17
	v_mov_b32_e32 v67, v17
	;; [unrolled: 1-line block ×5, first 2 shown]
	v_lshlrev_b64 v[22:23], 4, v[68:69]
	v_lshlrev_b64 v[24:25], 4, v[66:67]
	;; [unrolled: 1-line block ×4, first 2 shown]
	v_lshrrev_b32_e32 v45, 1, v58
	v_add_nc_u32_e32 v65, 0x4e, v58
	v_add_co_u32 v16, vcc_lo, s12, v22
	v_add_co_ci_u32_e32 v23, vcc_lo, s13, v23, vcc_lo
	v_add_co_u32 v24, vcc_lo, s12, v24
	v_add_co_ci_u32_e32 v25, vcc_lo, s13, v25, vcc_lo
	;; [unrolled: 2-line block ×4, first 2 shown]
	v_add_co_u32 v34, vcc_lo, s12, v30
	v_lshlrev_b64 v[16:17], 4, v[58:59]
	v_add_co_ci_u32_e32 v35, vcc_lo, s13, v31, vcc_lo
	v_add_co_u32 v30, vcc_lo, s12, v32
	v_add_co_ci_u32_e32 v31, vcc_lo, s13, v33, vcc_lo
	v_add_co_u32 v32, vcc_lo, s12, v16
	;; [unrolled: 2-line block ×5, first 2 shown]
	v_add_co_ci_u32_e32 v39, vcc_lo, 0, v35, vcc_lo
	s_clause 0x4
	global_load_dwordx4 v[22:25], v[22:23], off offset:64
	global_load_dwordx4 v[26:29], v[26:27], off offset:64
	;; [unrolled: 1-line block ×5, first 2 shown]
	v_add_nc_u32_e32 v66, 0x9c, v58
	v_add_nc_u32_e32 v67, 0xea, v58
	;; [unrolled: 1-line block ×3, first 2 shown]
	v_mul_hi_u32 v45, 0xa80a80a9, v45
	v_lshrrev_b32_e32 v47, 1, v65
	v_lshrrev_b32_e32 v48, 1, v66
	v_mul_lo_u32 v42, s5, v60
	v_mul_lo_u32 v43, s4, v61
	v_mad_u64_u32 v[16:17], null, s4, v60, 0
	v_lshrrev_b32_e32 v49, 1, v67
	v_lshrrev_b32_e32 v69, 1, v68
	v_mul_hi_u32 v70, 0xa80a80a9, v47
	v_mul_hi_u32 v71, 0xa80a80a9, v48
	v_lshrrev_b32_e32 v73, 7, v45
	v_mul_hi_u32 v72, 0xa80a80a9, v49
	v_mul_hi_u32 v69, 0xa80a80a9, v69
	v_add3_u32 v17, v17, v43, v42
	v_lshlrev_b64 v[56:57], 4, v[56:57]
	v_mul_u32_u24_e32 v73, 0x186, v73
	v_lshrrev_b32_e32 v70, 7, v70
	v_lshrrev_b32_e32 v71, 7, v71
	v_lshlrev_b64 v[16:17], 4, v[16:17]
	v_lshrrev_b32_e32 v72, 7, v72
	v_lshrrev_b32_e32 v69, 7, v69
	v_sub_nc_u32_e32 v58, v58, v73
	v_mul_u32_u24_e32 v73, 0x186, v70
	v_mul_u32_u24_e32 v74, 0x186, v71
	;; [unrolled: 1-line block ×3, first 2 shown]
	v_add_co_u32 v16, vcc_lo, s10, v16
	v_mul_u32_u24_e32 v76, 0x186, v69
	v_add_co_ci_u32_e32 v17, vcc_lo, s11, v17, vcc_lo
	v_add_nc_u32_e32 v82, 0x186, v58
	v_sub_nc_u32_e32 v65, v65, v73
	v_sub_nc_u32_e32 v66, v66, v74
	;; [unrolled: 1-line block ×3, first 2 shown]
	v_add_co_u32 v99, vcc_lo, v16, v56
	ds_read_b64 v[50:51], v87
	ds_read_b64 v[52:53], v88
	;; [unrolled: 1-line block ×4, first 2 shown]
	v_sub_nc_u32_e32 v68, v68, v76
	v_add_co_ci_u32_e32 v100, vcc_lo, v17, v57, vcc_lo
	v_mad_u64_u32 v[16:17], null, s2, v58, 0
	v_mad_u64_u32 v[56:57], null, s2, v82, 0
	v_add_nc_u32_e32 v44, 0x1000, v84
	v_add_nc_u32_e32 v46, 0x800, v84
	ds_read_b64 v[61:62], v84 offset:5616
	ds_read_b64 v[63:64], v83
	v_mad_u32_u24 v83, 0x30c, v70, v65
	v_mad_u32_u24 v84, 0x30c, v71, v66
	;; [unrolled: 1-line block ×4, first 2 shown]
	ds_read2_b64 v[42:45], v44 offset0:34 offset1:112
	ds_read2_b64 v[46:49], v46 offset0:134 offset1:212
	v_mad_u64_u32 v[65:66], null, s2, v83, 0
	v_add_nc_u32_e32 v87, 0x186, v83
	v_mad_u64_u32 v[67:68], null, s2, v84, 0
	v_add_nc_u32_e32 v88, 0x186, v84
	;; [unrolled: 2-line block ×3, first 2 shown]
	v_mad_u64_u32 v[73:74], null, s3, v58, v[17:18]
	v_mov_b32_e32 v17, v57
	v_mad_u64_u32 v[71:72], null, s2, v86, 0
	v_add_nc_u32_e32 v90, 0x186, v86
	v_mad_u64_u32 v[74:75], null, s2, v87, 0
	v_mad_u64_u32 v[76:77], null, s2, v88, 0
	;; [unrolled: 1-line block ×5, first 2 shown]
	v_mov_b32_e32 v58, v66
	v_mov_b32_e32 v66, v68
	;; [unrolled: 1-line block ×5, first 2 shown]
	s_waitcnt lgkmcnt(4)
	v_mad_u64_u32 v[72:73], null, s3, v83, v[58:59]
	v_mov_b32_e32 v58, v75
	v_mad_u64_u32 v[82:83], null, s3, v84, v[66:67]
	v_mov_b32_e32 v66, v77
	;; [unrolled: 2-line block ×4, first 2 shown]
	v_mad_u64_u32 v[85:86], null, s3, v87, v[58:59]
	v_mad_u64_u32 v[86:87], null, s3, v88, v[66:67]
	;; [unrolled: 1-line block ×4, first 2 shown]
	v_mov_b32_e32 v68, v82
	v_mov_b32_e32 v70, v83
	v_lshlrev_b64 v[16:17], 4, v[16:17]
	v_mov_b32_e32 v66, v72
	v_lshlrev_b64 v[56:57], 4, v[56:57]
	v_mov_b32_e32 v75, v85
	v_mov_b32_e32 v72, v84
	;; [unrolled: 1-line block ×3, first 2 shown]
	v_add_co_u32 v97, vcc_lo, v99, v16
	v_add_co_ci_u32_e32 v98, vcc_lo, v100, v17, vcc_lo
	v_lshlrev_b64 v[16:17], 4, v[65:66]
	v_lshlrev_b64 v[65:66], 4, v[67:68]
	;; [unrolled: 1-line block ×4, first 2 shown]
	v_mov_b32_e32 v79, v87
	v_mov_b32_e32 v81, v88
	v_lshlrev_b64 v[71:72], 4, v[80:81]
	s_waitcnt vmcnt(4)
	v_mul_f64 v[82:83], v[20:21], v[24:25]
	s_waitcnt lgkmcnt(3)
	v_mul_f64 v[24:25], v[61:62], v[24:25]
	s_waitcnt vmcnt(3)
	v_mul_f64 v[89:90], v[6:7], v[28:29]
	s_waitcnt vmcnt(2)
	v_mul_f64 v[91:92], v[0:1], v[32:33]
	s_waitcnt lgkmcnt(0)
	v_mul_f64 v[32:33], v[46:47], v[32:33]
	s_waitcnt vmcnt(1)
	v_mul_f64 v[93:94], v[2:3], v[36:37]
	v_mul_f64 v[36:37], v[48:49], v[36:37]
	s_waitcnt vmcnt(0)
	v_mul_f64 v[95:96], v[4:5], v[40:41]
	v_mul_f64 v[40:41], v[42:43], v[40:41]
	;; [unrolled: 1-line block ×3, first 2 shown]
	v_fma_f64 v[61:62], v[61:62], v[22:23], v[82:83]
	v_fma_f64 v[20:21], v[20:21], v[22:23], -v[24:25]
	v_fma_f64 v[22:23], v[44:45], v[26:27], v[89:90]
	v_fma_f64 v[24:25], v[46:47], v[30:31], v[91:92]
	v_fma_f64 v[30:31], v[0:1], v[30:31], -v[32:33]
	v_fma_f64 v[32:33], v[48:49], v[34:35], v[93:94]
	v_fma_f64 v[34:35], v[2:3], v[34:35], -v[36:37]
	v_fma_f64 v[36:37], v[42:43], v[38:39], v[95:96]
	v_fma_f64 v[4:5], v[4:5], v[38:39], -v[40:41]
	v_fma_f64 v[38:39], v[6:7], v[26:27], -v[28:29]
	v_add_co_u32 v44, vcc_lo, v99, v56
	v_add_co_ci_u32_e32 v45, vcc_lo, v100, v57, vcc_lo
	v_add_co_u32 v73, vcc_lo, v99, v16
	v_lshlrev_b64 v[46:47], 4, v[74:75]
	v_add_co_ci_u32_e32 v74, vcc_lo, v100, v17, vcc_lo
	v_lshlrev_b64 v[48:49], 4, v[76:77]
	v_lshlrev_b64 v[56:57], 4, v[78:79]
	v_add_f64 v[2:3], v[50:51], -v[61:62]
	v_add_f64 v[0:1], v[18:19], -v[20:21]
	;; [unrolled: 1-line block ×10, first 2 shown]
	v_add_co_u32 v61, vcc_lo, v99, v65
	v_add_co_ci_u32_e32 v62, vcc_lo, v100, v66, vcc_lo
	v_add_co_u32 v65, vcc_lo, v99, v67
	v_add_co_ci_u32_e32 v66, vcc_lo, v100, v68, vcc_lo
	;; [unrolled: 2-line block ×3, first 2 shown]
	v_fma_f64 v[34:35], v[50:51], 2.0, -v[2:3]
	v_fma_f64 v[32:33], v[18:19], 2.0, -v[0:1]
	;; [unrolled: 1-line block ×10, first 2 shown]
	v_add_co_u32 v12, vcc_lo, v99, v46
	v_add_co_ci_u32_e32 v13, vcc_lo, v100, v47, vcc_lo
	v_add_co_u32 v18, vcc_lo, v99, v48
	v_add_co_ci_u32_e32 v19, vcc_lo, v100, v49, vcc_lo
	v_add_co_u32 v46, vcc_lo, v99, v56
	v_add_co_ci_u32_e32 v47, vcc_lo, v100, v57, vcc_lo
	v_add_co_u32 v48, vcc_lo, v99, v71
	v_add_co_ci_u32_e32 v49, vcc_lo, v100, v72, vcc_lo
	global_store_dwordx4 v[97:98], v[36:39], off
	global_store_dwordx4 v[44:45], v[20:23], off
	global_store_dwordx4 v[73:74], v[40:43], off
	global_store_dwordx4 v[12:13], v[24:27], off
	global_store_dwordx4 v[61:62], v[8:11], off
	global_store_dwordx4 v[18:19], v[28:31], off
	global_store_dwordx4 v[65:66], v[14:17], off
	global_store_dwordx4 v[46:47], v[4:7], off
	global_store_dwordx4 v[67:68], v[32:35], off
	global_store_dwordx4 v[48:49], v[0:3], off
.LBB0_30:
	s_endpgm
	.section	.rodata,"a",@progbits
	.p2align	6, 0x0
	.amdhsa_kernel fft_rtc_fwd_len780_factors_2_3_13_5_2_wgs_234_tpt_78_halfLds_dp_op_CI_CI_sbrr_dirReg
		.amdhsa_group_segment_fixed_size 0
		.amdhsa_private_segment_fixed_size 0
		.amdhsa_kernarg_size 104
		.amdhsa_user_sgpr_count 6
		.amdhsa_user_sgpr_private_segment_buffer 1
		.amdhsa_user_sgpr_dispatch_ptr 0
		.amdhsa_user_sgpr_queue_ptr 0
		.amdhsa_user_sgpr_kernarg_segment_ptr 1
		.amdhsa_user_sgpr_dispatch_id 0
		.amdhsa_user_sgpr_flat_scratch_init 0
		.amdhsa_user_sgpr_private_segment_size 0
		.amdhsa_wavefront_size32 1
		.amdhsa_uses_dynamic_stack 0
		.amdhsa_system_sgpr_private_segment_wavefront_offset 0
		.amdhsa_system_sgpr_workgroup_id_x 1
		.amdhsa_system_sgpr_workgroup_id_y 0
		.amdhsa_system_sgpr_workgroup_id_z 0
		.amdhsa_system_sgpr_workgroup_info 0
		.amdhsa_system_vgpr_workitem_id 0
		.amdhsa_next_free_vgpr 175
		.amdhsa_next_free_sgpr 46
		.amdhsa_reserve_vcc 1
		.amdhsa_reserve_flat_scratch 0
		.amdhsa_float_round_mode_32 0
		.amdhsa_float_round_mode_16_64 0
		.amdhsa_float_denorm_mode_32 3
		.amdhsa_float_denorm_mode_16_64 3
		.amdhsa_dx10_clamp 1
		.amdhsa_ieee_mode 1
		.amdhsa_fp16_overflow 0
		.amdhsa_workgroup_processor_mode 1
		.amdhsa_memory_ordered 1
		.amdhsa_forward_progress 0
		.amdhsa_shared_vgpr_count 0
		.amdhsa_exception_fp_ieee_invalid_op 0
		.amdhsa_exception_fp_denorm_src 0
		.amdhsa_exception_fp_ieee_div_zero 0
		.amdhsa_exception_fp_ieee_overflow 0
		.amdhsa_exception_fp_ieee_underflow 0
		.amdhsa_exception_fp_ieee_inexact 0
		.amdhsa_exception_int_div_zero 0
	.end_amdhsa_kernel
	.text
.Lfunc_end0:
	.size	fft_rtc_fwd_len780_factors_2_3_13_5_2_wgs_234_tpt_78_halfLds_dp_op_CI_CI_sbrr_dirReg, .Lfunc_end0-fft_rtc_fwd_len780_factors_2_3_13_5_2_wgs_234_tpt_78_halfLds_dp_op_CI_CI_sbrr_dirReg
                                        ; -- End function
	.section	.AMDGPU.csdata,"",@progbits
; Kernel info:
; codeLenInByte = 11784
; NumSgprs: 48
; NumVgprs: 175
; ScratchSize: 0
; MemoryBound: 1
; FloatMode: 240
; IeeeMode: 1
; LDSByteSize: 0 bytes/workgroup (compile time only)
; SGPRBlocks: 5
; VGPRBlocks: 21
; NumSGPRsForWavesPerEU: 48
; NumVGPRsForWavesPerEU: 175
; Occupancy: 5
; WaveLimiterHint : 1
; COMPUTE_PGM_RSRC2:SCRATCH_EN: 0
; COMPUTE_PGM_RSRC2:USER_SGPR: 6
; COMPUTE_PGM_RSRC2:TRAP_HANDLER: 0
; COMPUTE_PGM_RSRC2:TGID_X_EN: 1
; COMPUTE_PGM_RSRC2:TGID_Y_EN: 0
; COMPUTE_PGM_RSRC2:TGID_Z_EN: 0
; COMPUTE_PGM_RSRC2:TIDIG_COMP_CNT: 0
	.text
	.p2alignl 6, 3214868480
	.fill 48, 4, 3214868480
	.type	__hip_cuid_4cb09a463f21b40d,@object ; @__hip_cuid_4cb09a463f21b40d
	.section	.bss,"aw",@nobits
	.globl	__hip_cuid_4cb09a463f21b40d
__hip_cuid_4cb09a463f21b40d:
	.byte	0                               ; 0x0
	.size	__hip_cuid_4cb09a463f21b40d, 1

	.ident	"AMD clang version 19.0.0git (https://github.com/RadeonOpenCompute/llvm-project roc-6.4.0 25133 c7fe45cf4b819c5991fe208aaa96edf142730f1d)"
	.section	".note.GNU-stack","",@progbits
	.addrsig
	.addrsig_sym __hip_cuid_4cb09a463f21b40d
	.amdgpu_metadata
---
amdhsa.kernels:
  - .args:
      - .actual_access:  read_only
        .address_space:  global
        .offset:         0
        .size:           8
        .value_kind:     global_buffer
      - .offset:         8
        .size:           8
        .value_kind:     by_value
      - .actual_access:  read_only
        .address_space:  global
        .offset:         16
        .size:           8
        .value_kind:     global_buffer
      - .actual_access:  read_only
        .address_space:  global
        .offset:         24
        .size:           8
        .value_kind:     global_buffer
      - .actual_access:  read_only
        .address_space:  global
        .offset:         32
        .size:           8
        .value_kind:     global_buffer
      - .offset:         40
        .size:           8
        .value_kind:     by_value
      - .actual_access:  read_only
        .address_space:  global
        .offset:         48
        .size:           8
        .value_kind:     global_buffer
      - .actual_access:  read_only
        .address_space:  global
        .offset:         56
        .size:           8
        .value_kind:     global_buffer
      - .offset:         64
        .size:           4
        .value_kind:     by_value
      - .actual_access:  read_only
        .address_space:  global
        .offset:         72
        .size:           8
        .value_kind:     global_buffer
      - .actual_access:  read_only
        .address_space:  global
        .offset:         80
        .size:           8
        .value_kind:     global_buffer
      - .actual_access:  read_only
        .address_space:  global
        .offset:         88
        .size:           8
        .value_kind:     global_buffer
      - .actual_access:  write_only
        .address_space:  global
        .offset:         96
        .size:           8
        .value_kind:     global_buffer
    .group_segment_fixed_size: 0
    .kernarg_segment_align: 8
    .kernarg_segment_size: 104
    .language:       OpenCL C
    .language_version:
      - 2
      - 0
    .max_flat_workgroup_size: 234
    .name:           fft_rtc_fwd_len780_factors_2_3_13_5_2_wgs_234_tpt_78_halfLds_dp_op_CI_CI_sbrr_dirReg
    .private_segment_fixed_size: 0
    .sgpr_count:     48
    .sgpr_spill_count: 0
    .symbol:         fft_rtc_fwd_len780_factors_2_3_13_5_2_wgs_234_tpt_78_halfLds_dp_op_CI_CI_sbrr_dirReg.kd
    .uniform_work_group_size: 1
    .uses_dynamic_stack: false
    .vgpr_count:     175
    .vgpr_spill_count: 0
    .wavefront_size: 32
    .workgroup_processor_mode: 1
amdhsa.target:   amdgcn-amd-amdhsa--gfx1030
amdhsa.version:
  - 1
  - 2
...

	.end_amdgpu_metadata
